;; amdgpu-corpus repo=ROCm/rocFFT kind=compiled arch=gfx950 opt=O3
	.text
	.amdgcn_target "amdgcn-amd-amdhsa--gfx950"
	.amdhsa_code_object_version 6
	.protected	fft_rtc_fwd_len1617_factors_3_7_7_11_wgs_231_tpt_231_sp_op_CI_CI_unitstride_sbrr_dirReg ; -- Begin function fft_rtc_fwd_len1617_factors_3_7_7_11_wgs_231_tpt_231_sp_op_CI_CI_unitstride_sbrr_dirReg
	.globl	fft_rtc_fwd_len1617_factors_3_7_7_11_wgs_231_tpt_231_sp_op_CI_CI_unitstride_sbrr_dirReg
	.p2align	8
	.type	fft_rtc_fwd_len1617_factors_3_7_7_11_wgs_231_tpt_231_sp_op_CI_CI_unitstride_sbrr_dirReg,@function
fft_rtc_fwd_len1617_factors_3_7_7_11_wgs_231_tpt_231_sp_op_CI_CI_unitstride_sbrr_dirReg: ; @fft_rtc_fwd_len1617_factors_3_7_7_11_wgs_231_tpt_231_sp_op_CI_CI_unitstride_sbrr_dirReg
; %bb.0:
	s_load_dwordx4 s[4:7], s[0:1], 0x58
	s_load_dwordx4 s[8:11], s[0:1], 0x0
	;; [unrolled: 1-line block ×3, first 2 shown]
	v_mul_u32_u24_e32 v1, 0x11c, v0
	v_add_u32_sdwa v6, s2, v1 dst_sel:DWORD dst_unused:UNUSED_PAD src0_sel:DWORD src1_sel:WORD_1
	v_mov_b32_e32 v4, 0
	s_waitcnt lgkmcnt(0)
	v_cmp_lt_u64_e64 s[2:3], s[10:11], 2
	v_mov_b32_e32 v7, v4
	s_and_b64 vcc, exec, s[2:3]
	v_mov_b64_e32 v[2:3], 0
	s_cbranch_vccnz .LBB0_8
; %bb.1:
	s_load_dwordx2 s[2:3], s[0:1], 0x10
	s_add_u32 s16, s14, 8
	s_addc_u32 s17, s15, 0
	s_add_u32 s18, s12, 8
	s_addc_u32 s19, s13, 0
	s_waitcnt lgkmcnt(0)
	s_add_u32 s20, s2, 8
	v_mov_b64_e32 v[2:3], 0
	s_addc_u32 s21, s3, 0
	s_mov_b64 s[22:23], 1
	v_mov_b64_e32 v[20:21], v[2:3]
.LBB0_2:                                ; =>This Inner Loop Header: Depth=1
	s_load_dwordx2 s[24:25], s[20:21], 0x0
                                        ; implicit-def: $vgpr22_vgpr23
	s_waitcnt lgkmcnt(0)
	v_or_b32_e32 v5, s25, v7
	v_cmp_ne_u64_e32 vcc, 0, v[4:5]
	s_and_saveexec_b64 s[2:3], vcc
	s_xor_b64 s[26:27], exec, s[2:3]
	s_cbranch_execz .LBB0_4
; %bb.3:                                ;   in Loop: Header=BB0_2 Depth=1
	v_cvt_f32_u32_e32 v1, s24
	v_cvt_f32_u32_e32 v5, s25
	s_sub_u32 s2, 0, s24
	s_subb_u32 s3, 0, s25
	v_fmac_f32_e32 v1, 0x4f800000, v5
	v_rcp_f32_e32 v1, v1
	s_nop 0
	v_mul_f32_e32 v1, 0x5f7ffffc, v1
	v_mul_f32_e32 v5, 0x2f800000, v1
	v_trunc_f32_e32 v5, v5
	v_fmac_f32_e32 v1, 0xcf800000, v5
	v_cvt_u32_f32_e32 v5, v5
	v_cvt_u32_f32_e32 v1, v1
	v_mul_lo_u32 v8, s2, v5
	v_mul_hi_u32 v10, s2, v1
	v_mul_lo_u32 v9, s3, v1
	v_add_u32_e32 v10, v10, v8
	v_mul_lo_u32 v12, s2, v1
	v_add_u32_e32 v13, v10, v9
	v_mul_hi_u32 v8, v1, v12
	v_mul_hi_u32 v11, v1, v13
	v_mul_lo_u32 v10, v1, v13
	v_mov_b32_e32 v9, v4
	v_lshl_add_u64 v[8:9], v[8:9], 0, v[10:11]
	v_mul_hi_u32 v11, v5, v12
	v_mul_lo_u32 v12, v5, v12
	v_add_co_u32_e32 v8, vcc, v8, v12
	v_mul_hi_u32 v10, v5, v13
	s_nop 0
	v_addc_co_u32_e32 v8, vcc, v9, v11, vcc
	v_mov_b32_e32 v9, v4
	s_nop 0
	v_addc_co_u32_e32 v11, vcc, 0, v10, vcc
	v_mul_lo_u32 v10, v5, v13
	v_lshl_add_u64 v[8:9], v[8:9], 0, v[10:11]
	v_add_co_u32_e32 v1, vcc, v1, v8
	v_mul_lo_u32 v10, s2, v1
	s_nop 0
	v_addc_co_u32_e32 v5, vcc, v5, v9, vcc
	v_mul_lo_u32 v8, s2, v5
	v_mul_hi_u32 v9, s2, v1
	v_add_u32_e32 v8, v9, v8
	v_mul_lo_u32 v9, s3, v1
	v_add_u32_e32 v12, v8, v9
	v_mul_hi_u32 v14, v5, v10
	v_mul_lo_u32 v15, v5, v10
	v_mul_hi_u32 v9, v1, v12
	v_mul_lo_u32 v8, v1, v12
	v_mul_hi_u32 v10, v1, v10
	v_mov_b32_e32 v11, v4
	v_lshl_add_u64 v[8:9], v[10:11], 0, v[8:9]
	v_add_co_u32_e32 v8, vcc, v8, v15
	v_mul_hi_u32 v13, v5, v12
	s_nop 0
	v_addc_co_u32_e32 v8, vcc, v9, v14, vcc
	v_mul_lo_u32 v10, v5, v12
	s_nop 0
	v_addc_co_u32_e32 v11, vcc, 0, v13, vcc
	v_mov_b32_e32 v9, v4
	v_lshl_add_u64 v[8:9], v[8:9], 0, v[10:11]
	v_add_co_u32_e32 v1, vcc, v1, v8
	v_mul_hi_u32 v10, v6, v1
	s_nop 0
	v_addc_co_u32_e32 v5, vcc, v5, v9, vcc
	v_mad_u64_u32 v[8:9], s[2:3], v6, v5, 0
	v_mov_b32_e32 v11, v4
	v_lshl_add_u64 v[8:9], v[10:11], 0, v[8:9]
	v_mad_u64_u32 v[12:13], s[2:3], v7, v1, 0
	v_add_co_u32_e32 v1, vcc, v8, v12
	v_mad_u64_u32 v[10:11], s[2:3], v7, v5, 0
	s_nop 0
	v_addc_co_u32_e32 v8, vcc, v9, v13, vcc
	v_mov_b32_e32 v9, v4
	s_nop 0
	v_addc_co_u32_e32 v11, vcc, 0, v11, vcc
	v_lshl_add_u64 v[8:9], v[8:9], 0, v[10:11]
	v_mul_lo_u32 v1, s25, v8
	v_mul_lo_u32 v5, s24, v9
	v_mad_u64_u32 v[10:11], s[2:3], s24, v8, 0
	v_add3_u32 v1, v11, v5, v1
	v_sub_u32_e32 v5, v7, v1
	v_mov_b32_e32 v11, s25
	v_sub_co_u32_e32 v14, vcc, v6, v10
	v_lshl_add_u64 v[12:13], v[8:9], 0, 1
	s_nop 0
	v_subb_co_u32_e64 v5, s[2:3], v5, v11, vcc
	v_subrev_co_u32_e64 v10, s[2:3], s24, v14
	v_subb_co_u32_e32 v1, vcc, v7, v1, vcc
	s_nop 0
	v_subbrev_co_u32_e64 v5, s[2:3], 0, v5, s[2:3]
	v_cmp_le_u32_e64 s[2:3], s25, v5
	v_cmp_le_u32_e32 vcc, s25, v1
	s_nop 0
	v_cndmask_b32_e64 v11, 0, -1, s[2:3]
	v_cmp_le_u32_e64 s[2:3], s24, v10
	s_nop 1
	v_cndmask_b32_e64 v10, 0, -1, s[2:3]
	v_cmp_eq_u32_e64 s[2:3], s25, v5
	s_nop 1
	v_cndmask_b32_e64 v5, v11, v10, s[2:3]
	v_lshl_add_u64 v[10:11], v[8:9], 0, 2
	v_cmp_ne_u32_e64 s[2:3], 0, v5
	s_nop 1
	v_cndmask_b32_e64 v5, v13, v11, s[2:3]
	v_cndmask_b32_e64 v11, 0, -1, vcc
	v_cmp_le_u32_e32 vcc, s24, v14
	s_nop 1
	v_cndmask_b32_e64 v13, 0, -1, vcc
	v_cmp_eq_u32_e32 vcc, s25, v1
	s_nop 1
	v_cndmask_b32_e32 v1, v11, v13, vcc
	v_cmp_ne_u32_e32 vcc, 0, v1
	v_cndmask_b32_e64 v1, v12, v10, s[2:3]
	s_nop 0
	v_cndmask_b32_e32 v23, v9, v5, vcc
	v_cndmask_b32_e32 v22, v8, v1, vcc
.LBB0_4:                                ;   in Loop: Header=BB0_2 Depth=1
	s_andn2_saveexec_b64 s[2:3], s[26:27]
	s_cbranch_execz .LBB0_6
; %bb.5:                                ;   in Loop: Header=BB0_2 Depth=1
	v_cvt_f32_u32_e32 v1, s24
	s_sub_i32 s26, 0, s24
	v_mov_b32_e32 v23, v4
	v_rcp_iflag_f32_e32 v1, v1
	s_nop 0
	v_mul_f32_e32 v1, 0x4f7ffffe, v1
	v_cvt_u32_f32_e32 v1, v1
	v_mul_lo_u32 v5, s26, v1
	v_mul_hi_u32 v5, v1, v5
	v_add_u32_e32 v1, v1, v5
	v_mul_hi_u32 v1, v6, v1
	v_mul_lo_u32 v5, v1, s24
	v_sub_u32_e32 v5, v6, v5
	v_add_u32_e32 v8, 1, v1
	v_subrev_u32_e32 v9, s24, v5
	v_cmp_le_u32_e32 vcc, s24, v5
	s_nop 1
	v_cndmask_b32_e32 v5, v5, v9, vcc
	v_cndmask_b32_e32 v1, v1, v8, vcc
	v_add_u32_e32 v8, 1, v1
	v_cmp_le_u32_e32 vcc, s24, v5
	s_nop 1
	v_cndmask_b32_e32 v22, v1, v8, vcc
.LBB0_6:                                ;   in Loop: Header=BB0_2 Depth=1
	s_or_b64 exec, exec, s[2:3]
	v_mad_u64_u32 v[8:9], s[2:3], v22, s24, 0
	s_load_dwordx2 s[2:3], s[18:19], 0x0
	v_mul_lo_u32 v1, v23, s24
	v_mul_lo_u32 v5, v22, s25
	s_load_dwordx2 s[24:25], s[16:17], 0x0
	s_add_u32 s22, s22, 1
	v_add3_u32 v1, v9, v5, v1
	v_sub_co_u32_e32 v5, vcc, v6, v8
	s_addc_u32 s23, s23, 0
	s_nop 0
	v_subb_co_u32_e32 v1, vcc, v7, v1, vcc
	s_add_u32 s16, s16, 8
	s_waitcnt lgkmcnt(0)
	v_mul_lo_u32 v6, s2, v1
	v_mul_lo_u32 v7, s3, v5
	v_mad_u64_u32 v[2:3], s[2:3], s2, v5, v[2:3]
	s_addc_u32 s17, s17, 0
	v_add3_u32 v3, v7, v3, v6
	v_mul_lo_u32 v1, s24, v1
	v_mul_lo_u32 v6, s25, v5
	v_mad_u64_u32 v[20:21], s[2:3], s24, v5, v[20:21]
	s_add_u32 s18, s18, 8
	v_add3_u32 v21, v6, v21, v1
	s_addc_u32 s19, s19, 0
	v_mov_b64_e32 v[6:7], s[10:11]
	s_add_u32 s20, s20, 8
	v_cmp_ge_u64_e32 vcc, s[22:23], v[6:7]
	s_addc_u32 s21, s21, 0
	s_cbranch_vccnz .LBB0_9
; %bb.7:                                ;   in Loop: Header=BB0_2 Depth=1
	v_mov_b64_e32 v[6:7], v[22:23]
	s_branch .LBB0_2
.LBB0_8:
	v_mov_b64_e32 v[20:21], v[2:3]
	v_mov_b64_e32 v[22:23], v[6:7]
.LBB0_9:
	s_load_dwordx2 s[2:3], s[0:1], 0x28
	s_lshl_b64 s[16:17], s[10:11], 3
	s_add_u32 s10, s14, s16
	s_addc_u32 s11, s15, s17
                                        ; implicit-def: $vgpr24
	s_waitcnt lgkmcnt(0)
	v_cmp_gt_u64_e64 s[0:1], s[2:3], v[22:23]
	v_cmp_le_u64_e32 vcc, s[2:3], v[22:23]
	s_and_saveexec_b64 s[2:3], vcc
	s_xor_b64 s[2:3], exec, s[2:3]
; %bb.10:
	s_mov_b32 s14, 0x11bb4a5
	v_mul_hi_u32 v1, v0, s14
	v_mul_u32_u24_e32 v1, 0xe7, v1
	v_sub_u32_e32 v24, v0, v1
                                        ; implicit-def: $vgpr0
                                        ; implicit-def: $vgpr2_vgpr3
; %bb.11:
	s_or_saveexec_b64 s[2:3], s[2:3]
	s_load_dwordx2 s[10:11], s[10:11], 0x0
                                        ; implicit-def: $vgpr8
                                        ; implicit-def: $vgpr10
                                        ; implicit-def: $vgpr4
                                        ; implicit-def: $vgpr16
                                        ; implicit-def: $vgpr28
                                        ; implicit-def: $vgpr30
                                        ; implicit-def: $vgpr14
                                        ; implicit-def: $vgpr12
                                        ; implicit-def: $vgpr18
	s_xor_b64 exec, exec, s[2:3]
	s_cbranch_execz .LBB0_15
; %bb.12:
	s_add_u32 s12, s12, s16
	s_addc_u32 s13, s13, s17
	s_load_dwordx2 s[12:13], s[12:13], 0x0
	s_mov_b32 s14, 0x11bb4a5
                                        ; implicit-def: $vgpr11
                                        ; implicit-def: $vgpr9
	s_waitcnt lgkmcnt(0)
	v_mul_lo_u32 v1, s13, v22
	v_mul_lo_u32 v6, s12, v23
	v_mad_u64_u32 v[4:5], s[12:13], s12, v22, 0
	v_add3_u32 v5, v5, v6, v1
	v_mul_hi_u32 v1, v0, s14
	v_mul_u32_u24_e32 v1, 0xe7, v1
	v_sub_u32_e32 v24, v0, v1
	v_lshl_add_u64 v[0:1], v[4:5], 3, s[4:5]
	v_lshl_add_u64 v[0:1], v[2:3], 3, v[0:1]
	v_lshlrev_b32_e32 v2, 3, v24
	v_mov_b32_e32 v3, 0
	v_lshl_add_u64 v[0:1], v[0:1], 0, v[2:3]
	s_movk_i32 s4, 0x1000
	v_add_co_u32_e32 v2, vcc, s4, v0
	global_load_dwordx2 v[16:17], v[0:1], off
	s_nop 0
	v_addc_co_u32_e32 v3, vcc, 0, v1, vcc
	v_add_co_u32_e32 v4, vcc, 0x2000, v0
	s_movk_i32 s4, 0x4d
	s_nop 0
	v_addc_co_u32_e32 v5, vcc, 0, v1, vcc
	global_load_dwordx2 v[12:13], v[2:3], off offset:2064
	global_load_dwordx2 v[28:29], v[2:3], off offset:216
	;; [unrolled: 1-line block ×5, first 2 shown]
	v_cmp_gt_u32_e32 vcc, s4, v24
                                        ; implicit-def: $vgpr5
	s_and_saveexec_b64 s[4:5], vcc
	s_cbranch_execz .LBB0_14
; %bb.13:
	v_add_co_u32_e32 v2, vcc, 0x1000, v0
	s_nop 1
	v_addc_co_u32_e32 v3, vcc, 0, v1, vcc
	v_add_co_u32_e32 v6, vcc, 0x3000, v0
	s_nop 1
	v_addc_co_u32_e32 v7, vcc, 0, v1, vcc
	global_load_dwordx2 v[8:9], v[0:1], off offset:3696
	global_load_dwordx2 v[4:5], v[2:3], off offset:3912
	;; [unrolled: 1-line block ×3, first 2 shown]
.LBB0_14:
	s_or_b64 exec, exec, s[4:5]
.LBB0_15:
	s_or_b64 exec, exec, s[2:3]
	s_mov_b32 s2, 0x3f5db3d7
	s_waitcnt vmcnt(3)
	v_pk_add_f32 v[32:33], v[16:17], v[28:29]
	s_waitcnt vmcnt(1)
	v_pk_add_f32 v[34:35], v[28:29], v[30:31]
	v_pk_add_f32 v[28:29], v[28:29], v[30:31] neg_lo:[0,1] neg_hi:[0,1]
	s_waitcnt vmcnt(0)
	v_pk_add_f32 v[0:1], v[10:11], v[4:5]
	v_pk_add_f32 v[2:3], v[4:5], v[10:11] neg_lo:[0,1] neg_hi:[0,1]
	v_pk_fma_f32 v[16:17], v[34:35], 0.5, v[16:17] op_sel_hi:[1,0,1] neg_lo:[1,0,0] neg_hi:[1,0,0]
	v_pk_mul_f32 v[28:29], v[28:29], s[2:3] op_sel_hi:[1,0]
	v_pk_fma_f32 v[0:1], v[0:1], 0.5, v[8:9] op_sel_hi:[1,0,1] neg_lo:[1,0,0] neg_hi:[1,0,0]
	v_pk_mul_f32 v[2:3], v[2:3], s[2:3] op_sel_hi:[1,0]
	v_pk_add_f32 v[32:33], v[32:33], v[30:31]
	v_pk_add_f32 v[30:31], v[16:17], v[28:29] op_sel:[0,1] op_sel_hi:[1,0]
	v_pk_add_f32 v[16:17], v[16:17], v[28:29] op_sel:[0,1] op_sel_hi:[1,0] neg_lo:[0,1] neg_hi:[0,1]
	v_pk_add_f32 v[26:27], v[0:1], v[2:3] op_sel:[0,1] op_sel_hi:[1,0]
	v_pk_add_f32 v[6:7], v[0:1], v[2:3] op_sel:[0,1] op_sel_hi:[1,0] neg_lo:[0,1] neg_hi:[0,1]
	v_mad_u32_u24 v2, v24, 24, 0
	v_mov_b32_e32 v28, v30
	v_mov_b32_e32 v29, v17
	;; [unrolled: 1-line block ×3, first 2 shown]
	ds_write2_b64 v2, v[32:33], v[28:29] offset1:1
	ds_write_b64 v2, v[16:17] offset:16
	v_pk_add_f32 v[16:17], v[14:15], v[12:13]
	v_pk_add_f32 v[28:29], v[12:13], v[18:19]
	v_pk_add_f32 v[12:13], v[12:13], v[18:19] neg_lo:[0,1] neg_hi:[0,1]
	v_pk_fma_f32 v[14:15], v[28:29], 0.5, v[14:15] op_sel_hi:[1,0,1] neg_lo:[1,0,0] neg_hi:[1,0,0]
	v_pk_mul_f32 v[12:13], v[12:13], s[2:3] op_sel_hi:[1,0]
	v_pk_add_f32 v[16:17], v[16:17], v[18:19]
	v_pk_add_f32 v[18:19], v[14:15], v[12:13] op_sel:[0,1] op_sel_hi:[1,0]
	v_pk_add_f32 v[12:13], v[14:15], v[12:13] op_sel:[0,1] op_sel_hi:[1,0] neg_lo:[0,1] neg_hi:[0,1]
	s_movk_i32 s2, 0x4d
	v_mov_b32_e32 v0, v6
	v_mov_b32_e32 v1, v27
	v_add_u32_e32 v3, 0x15a8, v2
	v_mov_b32_e32 v14, v18
	v_mov_b32_e32 v15, v13
	;; [unrolled: 1-line block ×3, first 2 shown]
	v_cmp_gt_u32_e32 vcc, s2, v24
	ds_write2_b64 v3, v[16:17], v[14:15] offset1:1
	ds_write_b64 v2, v[12:13] offset:5560
	s_and_saveexec_b64 s[2:3], vcc
	s_cbranch_execz .LBB0_17
; %bb.16:
	v_pk_add_f32 v[4:5], v[4:5], v[8:9]
	v_add_u32_e32 v3, 0x2b50, v2
	v_pk_add_f32 v[4:5], v[10:11], v[4:5]
	v_mov_b32_e32 v27, v7
	ds_write2_b64 v3, v[4:5], v[26:27] offset1:1
	ds_write_b64 v2, v[0:1] offset:11104
.LBB0_17:
	s_or_b64 exec, exec, s[2:3]
	s_movk_i32 s2, 0xab
	v_mul_lo_u16_sdwa v3, v24, s2 dst_sel:DWORD dst_unused:UNUSED_PAD src0_sel:BYTE_0 src1_sel:DWORD
	v_lshrrev_b16_e32 v6, 9, v3
	v_mul_lo_u16_e32 v3, 3, v6
	v_sub_u16_e32 v25, v24, v3
	v_mov_b32_e32 v27, 6
	v_mul_u32_u24_sdwa v3, v25, v27 dst_sel:DWORD dst_unused:UNUSED_PAD src0_sel:BYTE_0 src1_sel:DWORD
	v_lshlrev_b32_e32 v3, 3, v3
	s_waitcnt lgkmcnt(0)
	s_barrier
	global_load_dwordx4 v[8:11], v3, s[8:9]
	global_load_dwordx4 v[12:15], v3, s[8:9] offset:16
	global_load_dwordx4 v[16:19], v3, s[8:9] offset:32
	v_lshlrev_b32_e32 v3, 4, v24
	v_sub_u32_e32 v61, v2, v3
	ds_read2_b64 v[28:31], v61 offset1:231
	v_add_u32_e32 v62, 0xe00, v61
	v_add_u32_e32 v63, 0x1c80, v61
	ds_read_b64 v[4:5], v61 offset:11088
	ds_read2_b64 v[32:35], v62 offset0:14 offset1:245
	ds_read2_b64 v[36:39], v63 offset0:12 offset1:243
	v_mov_b32_e32 v60, 3
	v_mul_u32_u24_e32 v6, 0xa8, v6
	v_lshlrev_b32_sdwa v25, v60, v25 dst_sel:DWORD dst_unused:UNUSED_PAD src0_sel:DWORD src1_sel:BYTE_0
	s_waitcnt lgkmcnt(1)
	v_mov_b32_e32 v42, v32
	s_waitcnt lgkmcnt(0)
	v_mov_b32_e32 v43, v37
	v_mov_b32_e32 v44, v33
	;; [unrolled: 1-line block ×5, first 2 shown]
	v_add3_u32 v25, 0, v6, v25
	v_mov_b32_e32 v6, v31
	v_mov_b32_e32 v40, v5
	;; [unrolled: 1-line block ×4, first 2 shown]
	s_mov_b32 s2, 0x3eae86e6
	s_mov_b32 s3, 0xbf08b237
	;; [unrolled: 1-line block ×12, first 2 shown]
	s_barrier
	s_waitcnt vmcnt(2)
	v_mul_f32_e32 v41, v11, v33
	s_waitcnt vmcnt(1)
	v_mul_f32_e32 v33, v12, v35
	v_mul_f32_e32 v35, v13, v34
	v_mov_b32_e32 v54, v11
	v_mov_b32_e32 v55, v15
	s_waitcnt vmcnt(0)
	v_mul_f32_e32 v34, v17, v39
	v_mov_b32_e32 v57, v12
	v_mov_b32_e32 v12, v17
	v_pk_mul_f32 v[50:51], v[8:9], v[30:31] op_sel_hi:[1,0]
	v_mov_b32_e32 v52, v10
	v_mov_b32_e32 v53, v14
	;; [unrolled: 1-line block ×3, first 2 shown]
	v_pk_mul_f32 v[58:59], v[18:19], v[4:5] op_sel_hi:[1,0]
	v_fma_f32 v34, v16, v38, -v34
	v_pk_mul_f32 v[38:39], v[54:55], v[42:43]
	v_pk_mul_f32 v[12:13], v[12:13], v[46:47]
	v_fma_f32 v32, v10, v32, -v41
	v_pk_fma_f32 v[42:43], v[8:9], v[6:7], v[50:51] op_sel:[0,0,1] op_sel_hi:[1,1,0]
	v_pk_fma_f32 v[8:9], v[8:9], v[30:31], v[50:51] op_sel:[0,1,1] op_sel_hi:[1,1,0] neg_lo:[1,0,0] neg_hi:[1,0,0]
	v_pk_fma_f32 v[30:31], v[18:19], v[40:41], v[58:59] op_sel:[0,0,1] op_sel_hi:[1,1,0]
	v_pk_fma_f32 v[4:5], v[18:19], v[4:5], v[58:59] op_sel:[0,1,1] op_sel_hi:[1,1,0] neg_lo:[1,0,0] neg_hi:[1,0,0]
	v_pk_fma_f32 v[10:11], v[10:11], v[44:45], v[38:39]
	v_pk_fma_f32 v[18:19], v[52:53], v[44:45], v[38:39] neg_lo:[0,0,1] neg_hi:[0,0,1]
	v_pk_fma_f32 v[16:17], v[16:17], v[48:49], v[12:13]
	v_pk_fma_f32 v[12:13], v[56:57], v[48:49], v[12:13] neg_lo:[0,0,1] neg_hi:[0,0,1]
	v_mul_f32_e32 v37, v14, v37
	v_mul_f32_e32 v15, v15, v36
	v_mov_b32_e32 v43, v9
	v_mov_b32_e32 v31, v5
	;; [unrolled: 1-line block ×6, first 2 shown]
	v_pk_add_f32 v[4:5], v[32:33], v[34:35]
	v_mov_b32_e32 v33, v34
	v_pk_add_f32 v[34:35], v[42:43], v[30:31]
	v_pk_add_f32 v[14:15], v[36:37], v[14:15]
	;; [unrolled: 1-line block ×3, first 2 shown]
	v_mov_b32_e32 v9, v32
	v_mov_b32_e32 v32, v5
	;; [unrolled: 1-line block ×7, first 2 shown]
	v_pk_add_f32 v[30:31], v[42:43], v[30:31] neg_lo:[0,1] neg_hi:[0,1]
	v_pk_add_f32 v[8:9], v[8:9], v[32:33] neg_lo:[0,1] neg_hi:[0,1]
	v_pk_add_f32 v[42:43], v[4:5], v[14:15]
	v_pk_add_f32 v[12:13], v[12:13], v[18:19]
	v_pk_add_f32 v[10:11], v[10:11], v[16:17] neg_lo:[0,1] neg_hi:[0,1]
	v_mov_b32_e32 v39, v31
	v_mov_b32_e32 v38, v8
	;; [unrolled: 1-line block ×6, first 2 shown]
	v_pk_add_f32 v[38:39], v[38:39], v[10:11] neg_lo:[0,1] neg_hi:[0,1]
	v_pk_add_f32 v[18:19], v[18:19], v[4:5] neg_lo:[0,1] neg_hi:[0,1]
	v_mov_b32_e32 v15, v43
	v_mov_b32_e32 v44, v12
	;; [unrolled: 1-line block ×3, first 2 shown]
	v_pk_add_f32 v[12:13], v[42:43], v[12:13]
	v_pk_add_f32 v[16:17], v[16:17], v[8:9] neg_lo:[0,1] neg_hi:[0,1]
	v_pk_add_f32 v[32:33], v[10:11], v[8:9]
	v_pk_mul_f32 v[38:39], v[38:39], s[12:13]
	v_pk_add_f32 v[44:45], v[14:15], v[44:45] neg_lo:[0,1] neg_hi:[0,1]
	v_pk_add_f32 v[28:29], v[12:13], v[28:29]
	v_pk_mul_f32 v[18:19], v[18:19], s[18:19]
	v_pk_mul_f32 v[40:41], v[16:17], s[2:3]
	v_pk_add_f32 v[32:33], v[32:33], v[30:31]
	v_pk_mul_f32 v[42:43], v[44:45], s[20:21]
	v_pk_fma_f32 v[12:13], v[12:13], s[16:17], v[28:29] op_sel_hi:[1,0,1] neg_lo:[1,0,0] neg_hi:[1,0,0]
	v_pk_fma_f32 v[44:45], v[44:45], s[20:21], v[18:19]
	v_pk_fma_f32 v[16:17], v[16:17], s[2:3], v[38:39]
	v_mov_b32_e32 v11, v9
	v_mov_b32_e32 v5, v36
	;; [unrolled: 1-line block ×3, first 2 shown]
	v_pk_add_f32 v[44:45], v[44:45], v[12:13]
	v_pk_fma_f32 v[16:17], v[32:33], s[4:5], v[16:17] op_sel_hi:[1,0,1]
	v_pk_add_f32 v[8:9], v[10:11], v[30:31] neg_lo:[0,1] neg_hi:[0,1]
	v_pk_add_f32 v[4:5], v[4:5], v[14:15] neg_lo:[0,1] neg_hi:[0,1]
	v_mov_b32_e32 v10, v42
	v_mov_b32_e32 v11, v19
	;; [unrolled: 1-line block ×6, first 2 shown]
	v_pk_add_f32 v[46:47], v[44:45], v[16:17]
	v_pk_add_f32 v[16:17], v[44:45], v[16:17] neg_lo:[0,1] neg_hi:[0,1]
	v_pk_fma_f32 v[10:11], v[4:5], s[22:23], v[10:11] op_sel_hi:[1,0,1] neg_lo:[1,0,1] neg_hi:[1,0,1]
	v_pk_fma_f32 v[14:15], v[8:9], s[14:15], v[14:15] op_sel_hi:[1,0,1] neg_lo:[1,0,1] neg_hi:[1,0,1]
	;; [unrolled: 1-line block ×4, first 2 shown]
	v_mov_b32_e32 v44, v46
	v_mov_b32_e32 v45, v17
	v_pk_add_f32 v[10:11], v[10:11], v[12:13]
	v_pk_fma_f32 v[14:15], v[32:33], s[4:5], v[14:15] op_sel_hi:[1,0,1]
	v_pk_add_f32 v[4:5], v[4:5], v[12:13]
	v_pk_fma_f32 v[8:9], v[32:33], s[4:5], v[8:9] op_sel_hi:[1,0,1]
	ds_write2_b64 v25, v[28:29], v[44:45] offset1:3
	v_pk_add_f32 v[28:29], v[10:11], v[14:15]
	v_pk_add_f32 v[10:11], v[10:11], v[14:15] neg_lo:[0,1] neg_hi:[0,1]
	v_pk_add_f32 v[12:13], v[4:5], v[8:9] neg_lo:[0,1] neg_hi:[0,1]
	v_pk_add_f32 v[4:5], v[4:5], v[8:9]
	v_mov_b32_e32 v15, v11
	v_mov_b32_e32 v9, v5
	;; [unrolled: 1-line block ×4, first 2 shown]
	s_movk_i32 s5, 0x87
	ds_write2_b64 v25, v[4:5], v[10:11] offset0:12 offset1:15
	v_mul_lo_u16_sdwa v4, v24, s5 dst_sel:DWORD dst_unused:UNUSED_PAD src0_sel:BYTE_0 src1_sel:DWORD
	v_sub_u16_sdwa v5, v24, v4 dst_sel:DWORD dst_unused:UNUSED_PAD src0_sel:DWORD src1_sel:BYTE_1
	v_lshrrev_b16_e32 v5, 1, v5
	v_and_b32_e32 v5, 0x7f, v5
	v_add_u16_sdwa v4, v5, v4 dst_sel:DWORD dst_unused:UNUSED_PAD src0_sel:DWORD src1_sel:BYTE_1
	v_lshrrev_b16_e32 v4, 4, v4
	v_and_b32_e32 v6, 15, v4
	v_mov_b32_e32 v14, v28
	v_mov_b32_e32 v8, v12
	v_mov_b32_e32 v17, v47
	v_mul_lo_u16_e32 v4, 21, v6
	ds_write2_b64 v25, v[14:15], v[8:9] offset0:6 offset1:9
	ds_write_b64 v25, v[16:17] offset:144
	v_sub_u16_e32 v25, v24, v4
	v_mul_u32_u24_sdwa v4, v25, v27 dst_sel:DWORD dst_unused:UNUSED_PAD src0_sel:BYTE_0 src1_sel:DWORD
	v_lshlrev_b32_e32 v4, 3, v4
	s_waitcnt lgkmcnt(0)
	s_barrier
	global_load_dwordx4 v[8:11], v4, s[8:9] offset:160
	global_load_dwordx4 v[12:15], v4, s[8:9] offset:176
	;; [unrolled: 1-line block ×3, first 2 shown]
	ds_read2_b64 v[28:31], v61 offset1:231
	ds_read2_b64 v[32:35], v62 offset0:14 offset1:245
	ds_read2_b64 v[36:39], v63 offset0:12 offset1:243
	ds_read_b64 v[4:5], v61 offset:11088
	s_mov_b32 s15, s22
	s_waitcnt lgkmcnt(3)
	v_mov_b32_e32 v47, v30
	s_waitcnt lgkmcnt(2)
	v_mov_b32_e32 v46, v35
	v_mov_b32_e32 v49, v31
	;; [unrolled: 1-line block ×3, first 2 shown]
	s_waitcnt lgkmcnt(0)
	s_barrier
	s_waitcnt vmcnt(2)
	v_mov_b32_e32 v50, v8
	v_mov_b32_e32 v40, v11
	s_waitcnt vmcnt(0)
	v_mul_f32_e32 v27, v17, v31
	v_fma_f32 v31, v16, v30, -v27
	v_mov_b32_e32 v51, v16
	v_mov_b32_e32 v16, v9
	v_mul_f32_e32 v42, v19, v32
	v_pk_mul_f32 v[16:17], v[16:17], v[46:47]
	v_fmac_f32_e32 v42, v18, v33
	v_pk_fma_f32 v[46:47], v[50:51], v[48:49], v[16:17]
	v_pk_fma_f32 v[16:17], v[50:51], v[48:49], v[16:17] neg_lo:[0,0,1] neg_hi:[0,0,1]
	v_mov_b32_e32 v48, v18
	v_mov_b32_e32 v49, v8
	;; [unrolled: 1-line block ×5, first 2 shown]
	v_pk_mul_f32 v[8:9], v[8:9], v[18:19]
	v_mov_b32_e32 v41, v12
	v_mov_b32_e32 v50, v32
	v_mov_b32_e32 v51, v35
	v_pk_fma_f32 v[18:19], v[48:49], v[34:35], v[8:9] op_sel:[0,1,0]
	v_mov_b32_e32 v33, v5
	v_mov_b32_e32 v34, v36
	;; [unrolled: 1-line block ×3, first 2 shown]
	v_mul_f32_e32 v5, v15, v5
	v_mul_f32_e32 v44, v13, v38
	v_pk_fma_f32 v[8:9], v[48:49], v[50:51], v[8:9] neg_lo:[0,0,1] neg_hi:[0,0,1]
	v_pk_mul_f32 v[34:35], v[40:41], v[34:35]
	v_mov_b32_e32 v40, v37
	v_mov_b32_e32 v41, v4
	;; [unrolled: 1-line block ×3, first 2 shown]
	v_fma_f32 v5, v14, v4, -v5
	v_mov_b32_e32 v13, v14
	v_mov_b32_e32 v14, v11
	;; [unrolled: 1-line block ×6, first 2 shown]
	v_fmac_f32_e32 v44, v12, v39
	v_mov_b32_e32 v12, v10
	v_pk_mul_f32 v[10:11], v[14:15], v[40:41]
	v_pk_fma_f32 v[36:37], v[48:49], v[36:37], v[34:35] op_sel:[0,1,1] op_sel_hi:[1,1,0]
	v_pk_fma_f32 v[34:35], v[48:49], v[50:51], v[34:35] op_sel:[0,0,1] op_sel_hi:[1,1,0] neg_lo:[1,0,0] neg_hi:[1,0,0]
	v_pk_fma_f32 v[14:15], v[12:13], v[32:33], v[10:11]
	v_pk_fma_f32 v[10:11], v[12:13], v[32:33], v[10:11] neg_lo:[0,0,1] neg_hi:[0,0,1]
	v_mov_b32_e32 v17, v47
	v_mov_b32_e32 v9, v19
	;; [unrolled: 1-line block ×8, first 2 shown]
	v_pk_add_f32 v[32:33], v[16:17], v[10:11]
	v_pk_add_f32 v[34:35], v[8:9], v[34:35]
	v_mov_b32_e32 v8, v37
	v_mov_b32_e32 v9, v10
	;; [unrolled: 1-line block ×4, first 2 shown]
	v_add_f32_e32 v12, v31, v5
	v_pk_add_f32 v[4:5], v[30:31], v[4:5] neg_lo:[0,1] neg_hi:[0,1]
	v_pk_add_f32 v[30:31], v[42:43], v[44:45] neg_lo:[0,1] neg_hi:[0,1]
	;; [unrolled: 1-line block ×3, first 2 shown]
	v_mov_b32_e32 v39, v5
	v_mov_b32_e32 v38, v8
	;; [unrolled: 1-line block ×4, first 2 shown]
	v_add_f32_e32 v15, v42, v44
	v_mov_b32_e32 v14, v34
	v_mov_b32_e32 v13, v33
	v_pk_add_f32 v[36:37], v[8:9], v[30:31]
	v_pk_add_f32 v[38:39], v[38:39], v[40:41] neg_lo:[0,1] neg_hi:[0,1]
	v_mov_b32_e32 v40, v4
	v_mov_b32_e32 v9, v31
	v_pk_add_f32 v[10:11], v[14:15], v[12:13]
	v_mov_b32_e32 v13, v35
	v_mov_b32_e32 v14, v32
	v_pk_add_f32 v[40:41], v[40:41], v[8:9] neg_lo:[0,1] neg_hi:[0,1]
	v_mov_b32_e32 v8, v32
	v_mov_b32_e32 v9, v35
	v_pk_add_f32 v[16:17], v[32:33], v[34:35] neg_lo:[0,1] neg_hi:[0,1]
	v_pk_add_f32 v[18:19], v[12:13], v[14:15] neg_lo:[0,1] neg_hi:[0,1]
	v_pk_add_f32 v[10:11], v[8:9], v[10:11]
	v_pk_mul_f32 v[40:41], v[40:41], s[2:3]
	v_mov_b32_e32 v14, v31
	v_mov_b32_e32 v32, v5
	v_pk_add_f32 v[36:37], v[36:37], v[4:5]
	v_pk_add_f32 v[8:9], v[10:11], v[28:29]
	v_pk_mul_f32 v[28:29], v[16:17], s[18:19]
	v_pk_mul_f32 v[18:19], v[18:19], s[20:21]
	;; [unrolled: 1-line block ×3, first 2 shown]
	v_pk_fma_f32 v[38:39], v[38:39], s[12:13], v[40:41]
	v_pk_add_f32 v[14:15], v[14:15], v[32:33] neg_lo:[0,1] neg_hi:[0,1]
	v_mov_b32_e32 v31, v34
	v_mov_b32_e32 v5, v12
	v_pk_mul_f32 v[42:43], v[36:37], s[4:5] op_sel_hi:[1,0]
	v_pk_fma_f32 v[10:11], v[10:11], s[16:17], v[8:9] op_sel_hi:[1,0,1] neg_lo:[1,0,0] neg_hi:[1,0,0]
	v_pk_fma_f32 v[36:37], v[36:37], s[4:5], v[38:39] op_sel_hi:[1,0,1]
	v_pk_mul_f32 v[32:33], v[14:15], s[14:15]
	v_mov_b32_e32 v38, v41
	v_mov_b32_e32 v39, v19
	v_pk_add_f32 v[4:5], v[30:31], v[4:5] neg_lo:[0,1] neg_hi:[0,1]
	v_mov_b32_e32 v30, v44
	v_mov_b32_e32 v31, v28
	v_pk_fma_f32 v[14:15], v[14:15], s[14:15], v[38:39] neg_lo:[0,0,1] neg_hi:[0,0,1]
	v_mov_b32_e32 v38, v43
	v_pk_mul_f32 v[12:13], v[4:5], s[14:15]
	v_pk_fma_f32 v[4:5], v[4:5], s[14:15], v[30:31] neg_lo:[0,0,1] neg_hi:[0,0,1]
	v_mov_b32_e32 v43, v10
	v_mov_b32_e32 v28, v32
	;; [unrolled: 1-line block ×4, first 2 shown]
	v_pk_add_f32 v[30:31], v[42:43], v[4:5]
	v_pk_add_f32 v[4:5], v[28:29], v[32:33] neg_lo:[1,1] neg_hi:[1,1]
	v_pk_fma_f32 v[16:17], v[16:17], s[18:19], v[18:19]
	v_pk_add_f32 v[32:33], v[38:39], v[4:5]
	v_mov_b32_e32 v19, v12
	v_mov_b32_e32 v4, v13
	;; [unrolled: 1-line block ×3, first 2 shown]
	v_pk_add_f32 v[16:17], v[16:17], v[10:11]
	v_pk_add_f32 v[4:5], v[18:19], v[4:5] neg_lo:[1,1] neg_hi:[1,1]
	v_mov_b32_e32 v11, v42
	s_movk_i32 s2, 0x498
	v_pk_add_f32 v[14:15], v[38:39], v[14:15]
	v_pk_add_f32 v[10:11], v[4:5], v[10:11]
	v_pk_add_f32 v[28:29], v[16:17], v[36:37] neg_lo:[0,1] neg_hi:[0,1]
	v_pk_add_f32 v[4:5], v[16:17], v[36:37]
	v_mul_u32_u24_sdwa v6, v6, s2 dst_sel:DWORD dst_unused:UNUSED_PAD src0_sel:WORD_0 src1_sel:DWORD
	v_lshlrev_b32_sdwa v12, v60, v25 dst_sel:DWORD dst_unused:UNUSED_PAD src0_sel:DWORD src1_sel:BYTE_0
	v_add3_u32 v6, 0, v6, v12
	v_mov_b32_e32 v12, v4
	v_mov_b32_e32 v13, v29
	;; [unrolled: 1-line block ×8, first 2 shown]
	ds_write2_b64 v6, v[8:9], v[12:13] offset1:21
	v_pk_add_f32 v[18:19], v[34:35], v[10:11]
	v_pk_add_f32 v[12:13], v[34:35], v[10:11] neg_lo:[0,1] neg_hi:[0,1]
	v_pk_add_f32 v[14:15], v[16:17], v[30:31] neg_lo:[0,1] neg_hi:[0,1]
	v_pk_add_f32 v[32:33], v[16:17], v[30:31]
	v_pk_add_f32 v[16:17], v[30:31], v[16:17] neg_lo:[0,1] neg_hi:[0,1]
	v_pk_add_f32 v[30:31], v[10:11], v[34:35] neg_lo:[0,1] neg_hi:[0,1]
	s_movk_i32 s4, 0x93
	v_mov_b32_e32 v12, v18
	v_mov_b32_e32 v15, v33
	;; [unrolled: 1-line block ×6, first 2 shown]
	v_cmp_gt_u32_e32 vcc, s4, v24
	ds_write2_b64 v6, v[12:13], v[14:15] offset0:42 offset1:63
	ds_write2_b64 v6, v[16:17], v[30:31] offset0:84 offset1:105
	ds_write_b64 v6, v[10:11] offset:1008
	s_waitcnt lgkmcnt(0)
	s_barrier
	s_waitcnt lgkmcnt(0)
                                        ; implicit-def: $vgpr34
	s_and_saveexec_b64 s[2:3], vcc
	s_cbranch_execz .LBB0_19
; %bb.18:
	v_sub_u32_e32 v0, 0, v3
	v_add_u32_e32 v25, v2, v0
	v_add_u32_e32 v0, 0x800, v25
	ds_read2_b64 v[12:15], v0 offset0:38 offset1:185
	v_add_u32_e32 v0, 0x1000, v25
	v_add_u32_e32 v1, 0x1a00, v25
	ds_read2_b64 v[8:11], v25 offset1:147
	ds_read2_b64 v[4:7], v1 offset0:50 offset1:197
	ds_read2_b64 v[16:19], v0 offset0:76 offset1:223
	v_add_u32_e32 v0, 0x2400, v25
	ds_read2_b64 v[0:3], v0 offset0:24 offset1:171
	ds_read_b64 v[34:35], v25 offset:11760
	s_waitcnt lgkmcnt(5)
	v_mov_b32_e32 v33, v15
	s_waitcnt lgkmcnt(3)
	v_mov_b32_e32 v26, v6
	v_mov_b32_e32 v28, v4
	s_waitcnt lgkmcnt(2)
	v_mov_b32_e32 v30, v18
	v_mov_b32_e32 v32, v16
	;; [unrolled: 1-line block ×5, first 2 shown]
.LBB0_19:
	s_or_b64 exec, exec, s[2:3]
	v_cmp_gt_u32_e64 s[2:3], s4, v24
	s_and_b64 s[0:1], s[0:1], s[2:3]
	s_and_saveexec_b64 s[2:3], s[0:1]
	s_cbranch_execz .LBB0_21
; %bb.20:
	v_add_u32_e32 v6, 0xffffff6d, v24
	v_cndmask_b32_e32 v6, v6, v24, vcc
	v_mul_i32_i24_e32 v10, 10, v6
	v_mov_b32_e32 v11, 0
	v_lshl_add_u64 v[56:57], v[10:11], 3, s[8:9]
	global_load_dwordx4 v[36:39], v[56:57], off offset:1216
	global_load_dwordx4 v[40:43], v[56:57], off offset:1200
	global_load_dwordx4 v[44:47], v[56:57], off offset:1168
	global_load_dwordx4 v[48:51], v[56:57], off offset:1152
	global_load_dwordx4 v[52:55], v[56:57], off offset:1184
	s_waitcnt lgkmcnt(1)
	v_mov_b32_e32 v12, v3
	v_mov_b32_e32 v16, v1
	;; [unrolled: 1-line block ×3, first 2 shown]
	v_mul_lo_u32 v1, s11, v22
	v_mul_lo_u32 v3, s10, v23
	v_mad_u64_u32 v[6:7], s[0:1], s10, v22, 0
	v_add3_u32 v7, v7, v3, v1
	s_waitcnt lgkmcnt(0)
	v_mov_b32_e32 v10, v35
	v_lshl_add_u64 v[6:7], v[6:7], 3, s[6:7]
	v_mov_b32_e32 v58, v17
	v_mov_b32_e32 v60, v33
	;; [unrolled: 1-line block ×7, first 2 shown]
	v_lshl_add_u64 v[6:7], v[20:21], 3, v[6:7]
	v_mov_b32_e32 v4, v5
	v_mov_b32_e32 v22, v29
	v_lshl_add_u64 v[6:7], v[24:25], 3, v[6:7]
	s_mov_b32 s14, 0xbf27a4f4
	s_mov_b32 s18, 0xbe11bafb
	s_mov_b32 s15, 0xbf4178ce
	s_mov_b32 s19, 0xbf7d64f0
	s_mov_b32 s4, s15
	s_mov_b32 s5, s14
	s_mov_b32 s25, 0x3f7d64f0
	s_mov_b32 s24, s18
	s_mov_b32 s12, s25
	s_mov_b32 s13, s18
	s_mov_b32 s8, 0x3f575c64
	s_mov_b32 s9, 0xbf0a6770
	s_mov_b32 s0, s9
	s_mov_b32 s1, s8
	s_mov_b32 s22, 0xbf75a155
	s_mov_b32 s23, 0xbe903f40
	s_mov_b32 s6, s23
	s_mov_b32 s7, s22
	s_mov_b32 s11, 0xbf68dda4
	s_mov_b32 s10, 0x3ed4b147
	s_mov_b32 s2, s11
	s_mov_b32 s21, s10
	s_movk_i32 s3, 0x1000
	s_mov_b32 s29, 0x3f0a6770
	s_mov_b32 s28, s8
	;; [unrolled: 1-line block ×10, first 2 shown]
	s_waitcnt vmcnt(4)
	v_pk_mul_f32 v[10:11], v[10:11], v[38:39] op_sel_hi:[0,1]
	v_pk_mul_f32 v[12:13], v[12:13], v[36:37] op_sel_hi:[0,1]
	s_waitcnt vmcnt(3)
	v_pk_mul_f32 v[16:17], v[16:17], v[42:43] op_sel_hi:[0,1]
	v_pk_mul_f32 v[20:21], v[56:57], v[40:41] op_sel_hi:[0,1]
	;; [unrolled: 3-line block ×3, first 2 shown]
	s_waitcnt vmcnt(1)
	v_pk_mul_f32 v[58:59], v[64:65], v[48:49] op_sel:[0,1] op_sel_hi:[1,0]
	v_pk_mul_f32 v[60:61], v[62:63], v[50:51] op_sel_hi:[0,1]
	s_waitcnt vmcnt(0)
	v_pk_mul_f32 v[62:63], v[66:67], v[52:53] op_sel_hi:[0,1]
	v_pk_fma_f32 v[66:67], v[34:35], v[38:39], v[10:11] op_sel:[0,0,1] op_sel_hi:[0,1,0] neg_lo:[0,0,1] neg_hi:[0,0,1]
	v_pk_fma_f32 v[34:35], v[34:35], v[38:39], v[10:11] op_sel:[0,0,1] op_sel_hi:[0,1,0]
	v_pk_fma_f32 v[38:39], v[2:3], v[36:37], v[12:13] op_sel:[0,0,1] op_sel_hi:[1,1,0] neg_lo:[0,0,1] neg_hi:[0,0,1]
	v_pk_fma_f32 v[2:3], v[2:3], v[36:37], v[12:13] op_sel:[0,0,1] op_sel_hi:[0,1,0]
	;; [unrolled: 2-line block ×3, first 2 shown]
	v_pk_mul_f32 v[22:23], v[22:23], v[48:49] op_sel:[0,1] op_sel_hi:[0,0]
	v_pk_mul_f32 v[4:5], v[4:5], v[54:55] op_sel_hi:[0,1]
	v_mov_b32_e32 v0, v59
	v_pk_fma_f32 v[42:43], v[26:27], v[40:41], v[20:21] op_sel:[0,0,1] op_sel_hi:[1,1,0] neg_lo:[0,0,1] neg_hi:[0,0,1]
	v_pk_fma_f32 v[10:11], v[26:27], v[40:41], v[20:21] op_sel:[0,0,1] op_sel_hi:[0,1,0]
	v_pk_fma_f32 v[20:21], v[32:33], v[46:47], v[24:25] op_sel:[0,0,1] op_sel_hi:[1,1,0] neg_lo:[0,0,1] neg_hi:[0,0,1]
	v_pk_fma_f32 v[12:13], v[32:33], v[46:47], v[24:25] op_sel:[0,0,1] op_sel_hi:[0,1,0]
	v_pk_fma_f32 v[22:23], v[64:65], v[48:49], v[22:23] neg_lo:[0,0,1] neg_hi:[0,0,1]
	v_pk_fma_f32 v[26:27], v[18:19], v[50:51], v[60:61] op_sel:[0,0,1] op_sel_hi:[1,1,0] neg_lo:[0,0,1] neg_hi:[0,0,1]
	v_pk_fma_f32 v[16:17], v[18:19], v[50:51], v[60:61] op_sel:[0,0,1] op_sel_hi:[0,1,0]
	v_pk_fma_f32 v[32:33], v[28:29], v[54:55], v[4:5] op_sel:[0,0,1] op_sel_hi:[1,1,0] neg_lo:[0,0,1] neg_hi:[0,0,1]
	v_pk_fma_f32 v[4:5], v[28:29], v[54:55], v[4:5] op_sel:[0,0,1] op_sel_hi:[0,1,0]
	;; [unrolled: 2-line block ×3, first 2 shown]
	v_pk_fma_f32 v[30:31], v[64:65], v[48:49], v[0:1] op_sel:[0,1,0] op_sel_hi:[1,0,1]
	v_pk_fma_f32 v[24:25], v[14:15], v[44:45], v[56:57] op_sel:[0,0,1] op_sel_hi:[1,1,0] neg_lo:[0,0,1] neg_hi:[0,0,1]
	v_pk_fma_f32 v[14:15], v[14:15], v[44:45], v[56:57] op_sel:[0,0,1] op_sel_hi:[0,1,0]
	v_pk_add_f32 v[44:45], v[22:23], v[66:67] neg_lo:[0,1] neg_hi:[0,1]
	v_mov_b32_e32 v27, v17
	v_pk_add_f32 v[16:17], v[22:23], v[66:67]
	v_mov_b32_e32 v23, v30
	v_mov_b32_e32 v25, v15
	v_pk_add_f32 v[14:15], v[8:9], v[22:23]
	v_mov_b32_e32 v21, v13
	v_pk_add_f32 v[14:15], v[14:15], v[26:27]
	;; [unrolled: 2-line block ×5, first 2 shown]
	v_mov_b32_e32 v43, v11
	v_mov_b32_e32 v12, v35
	;; [unrolled: 1-line block ×3, first 2 shown]
	v_pk_add_f32 v[14:15], v[14:15], v[32:33]
	v_mov_b32_e32 v37, v1
	v_pk_add_f32 v[46:47], v[26:27], v[38:39] neg_lo:[0,1] neg_hi:[0,1]
	v_pk_add_f32 v[10:11], v[26:27], v[38:39]
	v_pk_add_f32 v[18:19], v[30:31], v[12:13] neg_lo:[0,1] neg_hi:[0,1]
	v_pk_add_f32 v[12:13], v[12:13], v[34:35]
	v_pk_add_f32 v[14:15], v[42:43], v[14:15]
	v_mov_b32_e32 v17, v44
	v_pk_add_f32 v[14:15], v[36:37], v[14:15]
	v_mov_b32_e32 v12, v18
	v_mov_b32_e32 v22, v10
	;; [unrolled: 1-line block ×3, first 2 shown]
	v_pk_mul_f32 v[30:31], v[16:17], s[14:15]
	v_mov_b32_e32 v40, v66
	v_mov_b32_e32 v41, v35
	v_pk_add_f32 v[48:49], v[24:25], v[36:37] neg_lo:[0,1] neg_hi:[0,1]
	v_pk_add_f32 v[4:5], v[24:25], v[36:37]
	v_pk_add_f32 v[52:53], v[28:29], v[32:33] neg_lo:[0,1] neg_hi:[0,1]
	v_pk_add_f32 v[0:1], v[28:29], v[32:33]
	v_pk_add_f32 v[14:15], v[38:39], v[14:15]
	v_mov_b32_e32 v10, v47
	v_pk_fma_f32 v[32:33], v[18:19], s[4:5], v[30:31] neg_lo:[1,0,0] neg_hi:[1,0,0]
	v_pk_fma_f32 v[34:35], v[12:13], s[4:5], v[30:31]
	v_pk_mul_f32 v[36:37], v[22:23], s[24:25]
	v_pk_add_f32 v[14:15], v[40:41], v[14:15]
	v_mov_b32_e32 v33, v35
	v_pk_fma_f32 v[38:39], v[10:11], s[12:13], v[36:37] neg_lo:[1,0,0] neg_hi:[1,0,0]
	v_pk_fma_f32 v[40:41], v[10:11], s[12:13], v[36:37]
	v_mov_b32_e32 v24, v4
	v_mov_b32_e32 v25, v48
	v_pk_add_f32 v[32:33], v[8:9], v[32:33]
	v_mov_b32_e32 v39, v41
	v_mov_b32_e32 v4, v49
	v_pk_add_f32 v[32:33], v[32:33], v[38:39]
	v_pk_mul_f32 v[38:39], v[24:25], s[8:9]
	v_pk_add_f32 v[50:51], v[20:21], v[42:43] neg_lo:[0,1] neg_hi:[0,1]
	v_pk_add_f32 v[2:3], v[20:21], v[42:43]
	v_pk_fma_f32 v[42:43], v[4:5], s[0:1], v[38:39] neg_lo:[1,0,0] neg_hi:[1,0,0]
	v_pk_fma_f32 v[44:45], v[4:5], s[0:1], v[38:39]
	v_mov_b32_e32 v26, v2
	v_mov_b32_e32 v27, v50
	;; [unrolled: 1-line block ×4, first 2 shown]
	v_pk_add_f32 v[32:33], v[32:33], v[42:43]
	v_pk_mul_f32 v[42:43], v[26:27], s[22:23]
	global_store_dwordx2 v[6:7], v[14:15], off
	v_pk_fma_f32 v[46:47], v[2:3], s[6:7], v[42:43] neg_lo:[1,0,0] neg_hi:[1,0,0]
	v_pk_fma_f32 v[48:49], v[2:3], s[6:7], v[42:43]
	v_pk_mul_f32 v[14:15], v[22:23], s[10:11]
	v_mov_b32_e32 v28, v0
	v_mov_b32_e32 v29, v52
	v_pk_mul_f32 v[20:21], v[16:17], s[10:11]
	s_mov_b32 s11, 0x3f68dda4
	v_mov_b32_e32 v47, v49
	v_mov_b32_e32 v0, v53
	s_mov_b32 s20, s11
	v_pk_add_f32 v[32:33], v[32:33], v[46:47]
	v_pk_mul_f32 v[46:47], v[28:29], s[10:11]
	v_pk_mul_f32 v[58:59], v[22:23], s[28:29]
	v_pk_fma_f32 v[50:51], v[0:1], s[20:21], v[46:47] neg_lo:[1,0,0] neg_hi:[1,0,0]
	v_pk_fma_f32 v[52:53], v[0:1], s[20:21], v[46:47]
	v_pk_fma_f32 v[60:61], v[10:11], s[16:17], v[58:59] neg_lo:[1,0,0] neg_hi:[1,0,0]
	v_mov_b32_e32 v51, v53
	v_pk_add_f32 v[32:33], v[32:33], v[50:51]
	v_add_co_u32_e32 v50, vcc, s3, v6
	v_pk_fma_f32 v[62:63], v[10:11], s[16:17], v[58:59]
	s_nop 0
	v_addc_co_u32_e32 v51, vcc, 0, v7, vcc
	global_store_dwordx2 v[50:51], v[32:33], off offset:608
	v_pk_mul_f32 v[32:33], v[16:17], s[22:23]
	v_mov_b32_e32 v61, v63
	v_pk_fma_f32 v[54:55], v[18:19], s[6:7], v[32:33] neg_lo:[1,0,0] neg_hi:[1,0,0]
	v_pk_fma_f32 v[56:57], v[12:13], s[6:7], v[32:33]
	v_pk_fma_f32 v[32:33], v[12:13], s[6:7], v[32:33] neg_lo:[0,0,1] neg_hi:[0,0,1]
	v_mov_b32_e32 v55, v57
	v_pk_add_f32 v[54:55], v[8:9], v[54:55]
	v_mov_b32_e32 v57, v33
	v_pk_add_f32 v[54:55], v[54:55], v[60:61]
	v_pk_mul_f32 v[60:61], v[24:25], s[14:15]
	v_pk_fma_f32 v[32:33], v[10:11], s[16:17], v[58:59] neg_lo:[0,0,1] neg_hi:[0,0,1]
	v_pk_fma_f32 v[64:65], v[4:5], s[4:5], v[60:61] neg_lo:[1,0,0] neg_hi:[1,0,0]
	v_pk_fma_f32 v[66:67], v[4:5], s[4:5], v[60:61]
	v_mov_b32_e32 v63, v33
	v_mov_b32_e32 v65, v67
	v_pk_add_f32 v[54:55], v[54:55], v[64:65]
	v_pk_mul_f32 v[64:65], v[26:27], s[10:11]
	v_pk_add_f32 v[32:33], v[8:9], v[56:57]
	v_pk_fma_f32 v[68:69], v[2:3], s[20:21], v[64:65] neg_lo:[1,0,0] neg_hi:[1,0,0]
	v_pk_fma_f32 v[70:71], v[2:3], s[20:21], v[64:65]
	v_pk_add_f32 v[32:33], v[32:33], v[62:63]
	v_mov_b32_e32 v69, v71
	v_pk_add_f32 v[54:55], v[54:55], v[68:69]
	v_pk_mul_f32 v[68:69], v[28:29], s[18:19]
	s_mov_b32 s3, s10
	v_pk_fma_f32 v[72:73], v[0:1], s[26:27], v[68:69] neg_lo:[1,0,0] neg_hi:[1,0,0]
	v_pk_fma_f32 v[74:75], v[0:1], s[26:27], v[68:69]
	v_pk_fma_f32 v[58:59], v[10:11], s[2:3], v[14:15]
	v_mov_b32_e32 v73, v75
	v_pk_add_f32 v[54:55], v[54:55], v[72:73]
	global_store_dwordx2 v[50:51], v[54:55], off offset:1784
	v_pk_fma_f32 v[54:55], v[4:5], s[4:5], v[60:61] neg_lo:[0,0,1] neg_hi:[0,0,1]
	v_pk_mul_f32 v[72:73], v[22:23], s[14:15]
	v_mov_b32_e32 v67, v55
	v_pk_fma_f32 v[54:55], v[2:3], s[20:21], v[64:65] neg_lo:[0,0,1] neg_hi:[0,0,1]
	v_pk_add_f32 v[32:33], v[32:33], v[66:67]
	v_mov_b32_e32 v71, v55
	v_pk_fma_f32 v[54:55], v[0:1], s[26:27], v[68:69] neg_lo:[0,0,1] neg_hi:[0,0,1]
	v_pk_add_f32 v[32:33], v[32:33], v[70:71]
	v_mov_b32_e32 v75, v55
	v_pk_mul_f32 v[54:55], v[16:17], s[8:9]
	v_pk_add_f32 v[32:33], v[32:33], v[74:75]
	v_pk_fma_f32 v[56:57], v[18:19], s[0:1], v[54:55] neg_lo:[1,0,0] neg_hi:[1,0,0]
	global_store_dwordx2 v[50:51], v[32:33], off offset:2960
	v_pk_fma_f32 v[32:33], v[12:13], s[0:1], v[54:55]
	v_pk_fma_f32 v[74:75], v[10:11], s[4:5], v[72:73] neg_lo:[1,0,0] neg_hi:[1,0,0]
	v_mov_b32_e32 v57, v33
	v_pk_add_f32 v[50:51], v[8:9], v[56:57]
	v_pk_fma_f32 v[56:57], v[10:11], s[2:3], v[14:15] neg_lo:[1,0,0] neg_hi:[1,0,0]
	v_pk_fma_f32 v[76:77], v[10:11], s[4:5], v[72:73]
	v_mov_b32_e32 v57, v59
	v_pk_add_f32 v[50:51], v[50:51], v[56:57]
	v_pk_mul_f32 v[56:57], v[24:25], s[18:19]
	v_mov_b32_e32 v75, v77
	v_pk_fma_f32 v[60:61], v[4:5], s[26:27], v[56:57] neg_lo:[1,0,0] neg_hi:[1,0,0]
	v_pk_fma_f32 v[62:63], v[4:5], s[26:27], v[56:57]
	v_pk_mul_f32 v[16:17], v[16:17], s[18:19]
	v_mov_b32_e32 v61, v63
	v_pk_add_f32 v[50:51], v[50:51], v[60:61]
	v_pk_mul_f32 v[60:61], v[26:27], s[14:15]
	v_pk_mul_f32 v[22:23], v[22:23], s[34:35]
	v_pk_fma_f32 v[64:65], v[2:3], s[4:5], v[60:61] neg_lo:[1,0,0] neg_hi:[1,0,0]
	v_pk_fma_f32 v[66:67], v[2:3], s[4:5], v[60:61]
	v_pk_fma_f32 v[90:91], v[10:11], s[30:31], v[22:23]
	v_mov_b32_e32 v65, v67
	v_pk_add_f32 v[50:51], v[50:51], v[64:65]
	v_pk_mul_f32 v[64:65], v[28:29], s[22:23]
	s_nop 0
	v_pk_fma_f32 v[68:69], v[0:1], s[6:7], v[64:65] neg_lo:[1,0,0] neg_hi:[1,0,0]
	v_pk_fma_f32 v[70:71], v[0:1], s[6:7], v[64:65]
	s_nop 0
	v_mov_b32_e32 v69, v71
	v_pk_add_f32 v[50:51], v[50:51], v[68:69]
	global_store_dwordx2 v[6:7], v[50:51], off offset:1176
	v_pk_fma_f32 v[50:51], v[18:19], s[2:3], v[20:21] neg_lo:[1,0,0] neg_hi:[1,0,0]
	v_pk_fma_f32 v[68:69], v[12:13], s[2:3], v[20:21]
	v_pk_fma_f32 v[18:19], v[18:19], s[26:27], v[16:17] neg_lo:[1,0,0] neg_hi:[1,0,0]
	v_mov_b32_e32 v51, v69
	v_pk_add_f32 v[50:51], v[8:9], v[50:51]
	s_nop 0
	v_pk_add_f32 v[50:51], v[50:51], v[74:75]
	v_pk_mul_f32 v[74:75], v[24:25], s[34:35]
	v_pk_mul_f32 v[24:25], v[24:25], s[10:11]
	v_pk_fma_f32 v[78:79], v[4:5], s[30:31], v[74:75] neg_lo:[1,0,0] neg_hi:[1,0,0]
	v_pk_fma_f32 v[80:81], v[4:5], s[30:31], v[74:75]
	v_pk_fma_f32 v[92:93], v[4:5], s[20:21], v[24:25]
	v_mov_b32_e32 v79, v81
	v_pk_add_f32 v[50:51], v[50:51], v[78:79]
	v_pk_mul_f32 v[78:79], v[26:27], s[24:25]
	v_pk_mul_f32 v[26:27], v[26:27], s[8:9]
	v_pk_fma_f32 v[82:83], v[2:3], s[12:13], v[78:79] neg_lo:[1,0,0] neg_hi:[1,0,0]
	v_pk_fma_f32 v[84:85], v[2:3], s[12:13], v[78:79]
	v_pk_fma_f32 v[94:95], v[2:3], s[0:1], v[26:27]
	v_mov_b32_e32 v83, v85
	;; [unrolled: 7-line block ×3, first 2 shown]
	v_pk_add_f32 v[50:51], v[50:51], v[86:87]
	global_store_dwordx2 v[6:7], v[50:51], off offset:2352
	v_pk_fma_f32 v[50:51], v[12:13], s[26:27], v[16:17]
	v_pk_fma_f32 v[86:87], v[10:11], s[30:31], v[22:23] neg_lo:[1,0,0] neg_hi:[1,0,0]
	v_mov_b32_e32 v19, v51
	v_pk_add_f32 v[18:19], v[8:9], v[18:19]
	v_mov_b32_e32 v87, v91
	v_pk_add_f32 v[18:19], v[18:19], v[86:87]
	v_pk_fma_f32 v[86:87], v[4:5], s[20:21], v[24:25] neg_lo:[1,0,0] neg_hi:[1,0,0]
	s_movk_i32 s8, 0x2000
	v_mov_b32_e32 v87, v93
	v_pk_add_f32 v[18:19], v[18:19], v[86:87]
	v_pk_fma_f32 v[86:87], v[2:3], s[0:1], v[26:27] neg_lo:[1,0,0] neg_hi:[1,0,0]
	v_pk_fma_f32 v[16:17], v[12:13], s[26:27], v[16:17] neg_lo:[0,0,1] neg_hi:[0,0,1]
	v_mov_b32_e32 v87, v95
	v_pk_add_f32 v[18:19], v[18:19], v[86:87]
	v_pk_fma_f32 v[86:87], v[0:1], s[4:5], v[28:29] neg_lo:[1,0,0] neg_hi:[1,0,0]
	v_mov_b32_e32 v51, v17
	v_mov_b32_e32 v87, v97
	v_pk_add_f32 v[18:19], v[18:19], v[86:87]
	global_store_dwordx2 v[6:7], v[18:19], off offset:3528
	v_pk_fma_f32 v[18:19], v[12:13], s[4:5], v[30:31] neg_lo:[0,0,1] neg_hi:[0,0,1]
	v_pk_fma_f32 v[30:31], v[4:5], s[0:1], v[38:39] neg_lo:[0,0,1] neg_hi:[0,0,1]
	v_mov_b32_e32 v35, v19
	v_pk_fma_f32 v[18:19], v[10:11], s[12:13], v[36:37] neg_lo:[0,0,1] neg_hi:[0,0,1]
	v_mov_b32_e32 v45, v31
	v_mov_b32_e32 v41, v19
	v_pk_add_f32 v[18:19], v[8:9], v[34:35]
	v_pk_fma_f32 v[30:31], v[2:3], s[6:7], v[42:43] neg_lo:[0,0,1] neg_hi:[0,0,1]
	v_pk_add_f32 v[18:19], v[18:19], v[40:41]
	v_mov_b32_e32 v49, v31
	v_pk_add_f32 v[18:19], v[18:19], v[44:45]
	v_pk_fma_f32 v[30:31], v[0:1], s[20:21], v[46:47] neg_lo:[0,0,1] neg_hi:[0,0,1]
	v_pk_add_f32 v[18:19], v[18:19], v[48:49]
	v_mov_b32_e32 v53, v31
	v_add_co_u32_e32 v6, vcc, s8, v6
	v_pk_add_f32 v[18:19], v[18:19], v[52:53]
	s_nop 0
	v_addc_co_u32_e32 v7, vcc, 0, v7, vcc
	v_pk_fma_f32 v[16:17], v[10:11], s[30:31], v[22:23] neg_lo:[0,0,1] neg_hi:[0,0,1]
	global_store_dwordx2 v[6:7], v[18:19], off offset:40
	v_mov_b32_e32 v91, v17
	v_pk_add_f32 v[16:17], v[8:9], v[50:51]
	v_pk_fma_f32 v[18:19], v[4:5], s[20:21], v[24:25] neg_lo:[0,0,1] neg_hi:[0,0,1]
	v_pk_add_f32 v[16:17], v[16:17], v[90:91]
	v_mov_b32_e32 v93, v19
	v_pk_fma_f32 v[18:19], v[2:3], s[0:1], v[26:27] neg_lo:[0,0,1] neg_hi:[0,0,1]
	v_pk_add_f32 v[16:17], v[16:17], v[92:93]
	v_mov_b32_e32 v95, v19
	;; [unrolled: 3-line block ×3, first 2 shown]
	v_pk_add_f32 v[16:17], v[16:17], v[96:97]
	global_store_dwordx2 v[6:7], v[16:17], off offset:1216
	v_pk_fma_f32 v[16:17], v[12:13], s[2:3], v[20:21] neg_lo:[0,0,1] neg_hi:[0,0,1]
	v_pk_fma_f32 v[12:13], v[12:13], s[0:1], v[54:55] neg_lo:[0,0,1] neg_hi:[0,0,1]
	v_mov_b32_e32 v69, v17
	v_pk_fma_f32 v[18:19], v[10:11], s[4:5], v[72:73] neg_lo:[0,0,1] neg_hi:[0,0,1]
	v_mov_b32_e32 v33, v13
	v_pk_fma_f32 v[10:11], v[10:11], s[2:3], v[14:15] neg_lo:[0,0,1] neg_hi:[0,0,1]
	v_pk_add_f32 v[16:17], v[8:9], v[68:69]
	v_mov_b32_e32 v77, v19
	v_pk_fma_f32 v[18:19], v[4:5], s[30:31], v[74:75] neg_lo:[0,0,1] neg_hi:[0,0,1]
	v_pk_add_f32 v[8:9], v[8:9], v[32:33]
	;; [unrolled: 3-line block ×7, first 2 shown]
	v_mov_b32_e32 v89, v19
	v_pk_add_f32 v[2:3], v[4:5], v[66:67]
	v_mov_b32_e32 v71, v1
	v_pk_add_f32 v[16:17], v[16:17], v[88:89]
	v_pk_add_f32 v[0:1], v[2:3], v[70:71]
	global_store_dwordx2 v[6:7], v[16:17], off offset:2392
	global_store_dwordx2 v[6:7], v[0:1], off offset:3568
.LBB0_21:
	s_endpgm
	.section	.rodata,"a",@progbits
	.p2align	6, 0x0
	.amdhsa_kernel fft_rtc_fwd_len1617_factors_3_7_7_11_wgs_231_tpt_231_sp_op_CI_CI_unitstride_sbrr_dirReg
		.amdhsa_group_segment_fixed_size 0
		.amdhsa_private_segment_fixed_size 0
		.amdhsa_kernarg_size 104
		.amdhsa_user_sgpr_count 2
		.amdhsa_user_sgpr_dispatch_ptr 0
		.amdhsa_user_sgpr_queue_ptr 0
		.amdhsa_user_sgpr_kernarg_segment_ptr 1
		.amdhsa_user_sgpr_dispatch_id 0
		.amdhsa_user_sgpr_kernarg_preload_length 0
		.amdhsa_user_sgpr_kernarg_preload_offset 0
		.amdhsa_user_sgpr_private_segment_size 0
		.amdhsa_uses_dynamic_stack 0
		.amdhsa_enable_private_segment 0
		.amdhsa_system_sgpr_workgroup_id_x 1
		.amdhsa_system_sgpr_workgroup_id_y 0
		.amdhsa_system_sgpr_workgroup_id_z 0
		.amdhsa_system_sgpr_workgroup_info 0
		.amdhsa_system_vgpr_workitem_id 0
		.amdhsa_next_free_vgpr 98
		.amdhsa_next_free_sgpr 36
		.amdhsa_accum_offset 100
		.amdhsa_reserve_vcc 1
		.amdhsa_float_round_mode_32 0
		.amdhsa_float_round_mode_16_64 0
		.amdhsa_float_denorm_mode_32 3
		.amdhsa_float_denorm_mode_16_64 3
		.amdhsa_dx10_clamp 1
		.amdhsa_ieee_mode 1
		.amdhsa_fp16_overflow 0
		.amdhsa_tg_split 0
		.amdhsa_exception_fp_ieee_invalid_op 0
		.amdhsa_exception_fp_denorm_src 0
		.amdhsa_exception_fp_ieee_div_zero 0
		.amdhsa_exception_fp_ieee_overflow 0
		.amdhsa_exception_fp_ieee_underflow 0
		.amdhsa_exception_fp_ieee_inexact 0
		.amdhsa_exception_int_div_zero 0
	.end_amdhsa_kernel
	.text
.Lfunc_end0:
	.size	fft_rtc_fwd_len1617_factors_3_7_7_11_wgs_231_tpt_231_sp_op_CI_CI_unitstride_sbrr_dirReg, .Lfunc_end0-fft_rtc_fwd_len1617_factors_3_7_7_11_wgs_231_tpt_231_sp_op_CI_CI_unitstride_sbrr_dirReg
                                        ; -- End function
	.section	.AMDGPU.csdata,"",@progbits
; Kernel info:
; codeLenInByte = 6560
; NumSgprs: 42
; NumVgprs: 98
; NumAgprs: 0
; TotalNumVgprs: 98
; ScratchSize: 0
; MemoryBound: 0
; FloatMode: 240
; IeeeMode: 1
; LDSByteSize: 0 bytes/workgroup (compile time only)
; SGPRBlocks: 5
; VGPRBlocks: 12
; NumSGPRsForWavesPerEU: 42
; NumVGPRsForWavesPerEU: 98
; AccumOffset: 100
; Occupancy: 4
; WaveLimiterHint : 1
; COMPUTE_PGM_RSRC2:SCRATCH_EN: 0
; COMPUTE_PGM_RSRC2:USER_SGPR: 2
; COMPUTE_PGM_RSRC2:TRAP_HANDLER: 0
; COMPUTE_PGM_RSRC2:TGID_X_EN: 1
; COMPUTE_PGM_RSRC2:TGID_Y_EN: 0
; COMPUTE_PGM_RSRC2:TGID_Z_EN: 0
; COMPUTE_PGM_RSRC2:TIDIG_COMP_CNT: 0
; COMPUTE_PGM_RSRC3_GFX90A:ACCUM_OFFSET: 24
; COMPUTE_PGM_RSRC3_GFX90A:TG_SPLIT: 0
	.text
	.p2alignl 6, 3212836864
	.fill 256, 4, 3212836864
	.type	__hip_cuid_3defde46c4c7c652,@object ; @__hip_cuid_3defde46c4c7c652
	.section	.bss,"aw",@nobits
	.globl	__hip_cuid_3defde46c4c7c652
__hip_cuid_3defde46c4c7c652:
	.byte	0                               ; 0x0
	.size	__hip_cuid_3defde46c4c7c652, 1

	.ident	"AMD clang version 19.0.0git (https://github.com/RadeonOpenCompute/llvm-project roc-6.4.0 25133 c7fe45cf4b819c5991fe208aaa96edf142730f1d)"
	.section	".note.GNU-stack","",@progbits
	.addrsig
	.addrsig_sym __hip_cuid_3defde46c4c7c652
	.amdgpu_metadata
---
amdhsa.kernels:
  - .agpr_count:     0
    .args:
      - .actual_access:  read_only
        .address_space:  global
        .offset:         0
        .size:           8
        .value_kind:     global_buffer
      - .offset:         8
        .size:           8
        .value_kind:     by_value
      - .actual_access:  read_only
        .address_space:  global
        .offset:         16
        .size:           8
        .value_kind:     global_buffer
      - .actual_access:  read_only
        .address_space:  global
        .offset:         24
        .size:           8
        .value_kind:     global_buffer
      - .actual_access:  read_only
        .address_space:  global
        .offset:         32
        .size:           8
        .value_kind:     global_buffer
      - .offset:         40
        .size:           8
        .value_kind:     by_value
      - .actual_access:  read_only
        .address_space:  global
        .offset:         48
        .size:           8
        .value_kind:     global_buffer
      - .actual_access:  read_only
        .address_space:  global
        .offset:         56
        .size:           8
        .value_kind:     global_buffer
      - .offset:         64
        .size:           4
        .value_kind:     by_value
      - .actual_access:  read_only
        .address_space:  global
        .offset:         72
        .size:           8
        .value_kind:     global_buffer
      - .actual_access:  read_only
        .address_space:  global
        .offset:         80
        .size:           8
        .value_kind:     global_buffer
      - .actual_access:  read_only
        .address_space:  global
        .offset:         88
        .size:           8
        .value_kind:     global_buffer
      - .actual_access:  write_only
        .address_space:  global
        .offset:         96
        .size:           8
        .value_kind:     global_buffer
    .group_segment_fixed_size: 0
    .kernarg_segment_align: 8
    .kernarg_segment_size: 104
    .language:       OpenCL C
    .language_version:
      - 2
      - 0
    .max_flat_workgroup_size: 231
    .name:           fft_rtc_fwd_len1617_factors_3_7_7_11_wgs_231_tpt_231_sp_op_CI_CI_unitstride_sbrr_dirReg
    .private_segment_fixed_size: 0
    .sgpr_count:     42
    .sgpr_spill_count: 0
    .symbol:         fft_rtc_fwd_len1617_factors_3_7_7_11_wgs_231_tpt_231_sp_op_CI_CI_unitstride_sbrr_dirReg.kd
    .uniform_work_group_size: 1
    .uses_dynamic_stack: false
    .vgpr_count:     98
    .vgpr_spill_count: 0
    .wavefront_size: 64
amdhsa.target:   amdgcn-amd-amdhsa--gfx950
amdhsa.version:
  - 1
  - 2
...

	.end_amdgpu_metadata
